;; amdgpu-corpus repo=ROCm/rocFFT kind=compiled arch=gfx1201 opt=O3
	.text
	.amdgcn_target "amdgcn-amd-amdhsa--gfx1201"
	.amdhsa_code_object_version 6
	.protected	fft_rtc_fwd_len1331_factors_11_11_11_wgs_242_tpt_121_halfLds_dp_ip_CI_sbrr_dirReg ; -- Begin function fft_rtc_fwd_len1331_factors_11_11_11_wgs_242_tpt_121_halfLds_dp_ip_CI_sbrr_dirReg
	.globl	fft_rtc_fwd_len1331_factors_11_11_11_wgs_242_tpt_121_halfLds_dp_ip_CI_sbrr_dirReg
	.p2align	8
	.type	fft_rtc_fwd_len1331_factors_11_11_11_wgs_242_tpt_121_halfLds_dp_ip_CI_sbrr_dirReg,@function
fft_rtc_fwd_len1331_factors_11_11_11_wgs_242_tpt_121_halfLds_dp_ip_CI_sbrr_dirReg: ; @fft_rtc_fwd_len1331_factors_11_11_11_wgs_242_tpt_121_halfLds_dp_ip_CI_sbrr_dirReg
; %bb.0:
	s_clause 0x2
	s_load_b64 s[12:13], s[0:1], 0x18
	s_load_b128 s[4:7], s[0:1], 0x0
	s_load_b64 s[10:11], s[0:1], 0x50
	v_mul_u32_u24_e32 v1, 0x21e, v0
	v_mov_b32_e32 v3, 0
	s_delay_alu instid0(VALU_DEP_2) | instskip(SKIP_2) | instid1(VALU_DEP_4)
	v_lshrrev_b32_e32 v55, 16, v1
	v_mov_b32_e32 v1, 0
	v_mov_b32_e32 v2, 0
	;; [unrolled: 1-line block ×3, first 2 shown]
	s_delay_alu instid0(VALU_DEP_4) | instskip(SKIP_3) | instid1(VALU_DEP_1)
	v_lshl_add_u32 v5, ttmp9, 1, v55
	s_wait_kmcnt 0x0
	s_load_b64 s[8:9], s[12:13], 0x0
	v_cmp_lt_u64_e64 s2, s[6:7], 2
	s_and_b32 vcc_lo, exec_lo, s2
	s_cbranch_vccnz .LBB0_8
; %bb.1:
	s_load_b64 s[2:3], s[0:1], 0x10
	v_mov_b32_e32 v1, 0
	v_mov_b32_e32 v2, 0
	s_add_nc_u64 s[14:15], s[12:13], 8
	s_mov_b64 s[16:17], 1
	s_wait_kmcnt 0x0
	s_add_nc_u64 s[18:19], s[2:3], 8
	s_mov_b32 s3, 0
.LBB0_2:                                ; =>This Inner Loop Header: Depth=1
	s_load_b64 s[20:21], s[18:19], 0x0
                                        ; implicit-def: $vgpr7_vgpr8
	s_mov_b32 s2, exec_lo
	s_wait_kmcnt 0x0
	v_or_b32_e32 v4, s21, v6
	s_delay_alu instid0(VALU_DEP_1)
	v_cmpx_ne_u64_e32 0, v[3:4]
	s_wait_alu 0xfffe
	s_xor_b32 s22, exec_lo, s2
	s_cbranch_execz .LBB0_4
; %bb.3:                                ;   in Loop: Header=BB0_2 Depth=1
	s_cvt_f32_u32 s2, s20
	s_cvt_f32_u32 s23, s21
	s_sub_nc_u64 s[26:27], 0, s[20:21]
	s_wait_alu 0xfffe
	s_delay_alu instid0(SALU_CYCLE_1) | instskip(SKIP_1) | instid1(SALU_CYCLE_2)
	s_fmamk_f32 s2, s23, 0x4f800000, s2
	s_wait_alu 0xfffe
	v_s_rcp_f32 s2, s2
	s_delay_alu instid0(TRANS32_DEP_1) | instskip(SKIP_1) | instid1(SALU_CYCLE_2)
	s_mul_f32 s2, s2, 0x5f7ffffc
	s_wait_alu 0xfffe
	s_mul_f32 s23, s2, 0x2f800000
	s_wait_alu 0xfffe
	s_delay_alu instid0(SALU_CYCLE_2) | instskip(SKIP_1) | instid1(SALU_CYCLE_2)
	s_trunc_f32 s23, s23
	s_wait_alu 0xfffe
	s_fmamk_f32 s2, s23, 0xcf800000, s2
	s_cvt_u32_f32 s25, s23
	s_wait_alu 0xfffe
	s_delay_alu instid0(SALU_CYCLE_1) | instskip(SKIP_1) | instid1(SALU_CYCLE_2)
	s_cvt_u32_f32 s24, s2
	s_wait_alu 0xfffe
	s_mul_u64 s[28:29], s[26:27], s[24:25]
	s_wait_alu 0xfffe
	s_mul_hi_u32 s31, s24, s29
	s_mul_i32 s30, s24, s29
	s_mul_hi_u32 s2, s24, s28
	s_mul_i32 s33, s25, s28
	s_wait_alu 0xfffe
	s_add_nc_u64 s[30:31], s[2:3], s[30:31]
	s_mul_hi_u32 s23, s25, s28
	s_mul_hi_u32 s34, s25, s29
	s_add_co_u32 s2, s30, s33
	s_wait_alu 0xfffe
	s_add_co_ci_u32 s2, s31, s23
	s_mul_i32 s28, s25, s29
	s_add_co_ci_u32 s29, s34, 0
	s_wait_alu 0xfffe
	s_add_nc_u64 s[28:29], s[2:3], s[28:29]
	s_wait_alu 0xfffe
	v_add_co_u32 v4, s2, s24, s28
	s_delay_alu instid0(VALU_DEP_1) | instskip(SKIP_1) | instid1(VALU_DEP_1)
	s_cmp_lg_u32 s2, 0
	s_add_co_ci_u32 s25, s25, s29
	v_readfirstlane_b32 s24, v4
	s_wait_alu 0xfffe
	s_delay_alu instid0(VALU_DEP_1)
	s_mul_u64 s[26:27], s[26:27], s[24:25]
	s_wait_alu 0xfffe
	s_mul_hi_u32 s29, s24, s27
	s_mul_i32 s28, s24, s27
	s_mul_hi_u32 s2, s24, s26
	s_mul_i32 s30, s25, s26
	s_wait_alu 0xfffe
	s_add_nc_u64 s[28:29], s[2:3], s[28:29]
	s_mul_hi_u32 s23, s25, s26
	s_mul_hi_u32 s24, s25, s27
	s_wait_alu 0xfffe
	s_add_co_u32 s2, s28, s30
	s_add_co_ci_u32 s2, s29, s23
	s_mul_i32 s26, s25, s27
	s_add_co_ci_u32 s27, s24, 0
	s_wait_alu 0xfffe
	s_add_nc_u64 s[26:27], s[2:3], s[26:27]
	s_wait_alu 0xfffe
	v_add_co_u32 v4, s2, v4, s26
	s_delay_alu instid0(VALU_DEP_1) | instskip(SKIP_1) | instid1(VALU_DEP_1)
	s_cmp_lg_u32 s2, 0
	s_add_co_ci_u32 s2, s25, s27
	v_mul_hi_u32 v13, v5, v4
	s_wait_alu 0xfffe
	v_mad_co_u64_u32 v[7:8], null, v5, s2, 0
	v_mad_co_u64_u32 v[9:10], null, v6, v4, 0
	;; [unrolled: 1-line block ×3, first 2 shown]
	s_delay_alu instid0(VALU_DEP_3) | instskip(SKIP_1) | instid1(VALU_DEP_4)
	v_add_co_u32 v4, vcc_lo, v13, v7
	s_wait_alu 0xfffd
	v_add_co_ci_u32_e32 v7, vcc_lo, 0, v8, vcc_lo
	s_delay_alu instid0(VALU_DEP_2) | instskip(SKIP_1) | instid1(VALU_DEP_2)
	v_add_co_u32 v4, vcc_lo, v4, v9
	s_wait_alu 0xfffd
	v_add_co_ci_u32_e32 v4, vcc_lo, v7, v10, vcc_lo
	s_wait_alu 0xfffd
	v_add_co_ci_u32_e32 v7, vcc_lo, 0, v12, vcc_lo
	s_delay_alu instid0(VALU_DEP_2) | instskip(SKIP_1) | instid1(VALU_DEP_2)
	v_add_co_u32 v4, vcc_lo, v4, v11
	s_wait_alu 0xfffd
	v_add_co_ci_u32_e32 v9, vcc_lo, 0, v7, vcc_lo
	s_delay_alu instid0(VALU_DEP_2) | instskip(SKIP_1) | instid1(VALU_DEP_3)
	v_mul_lo_u32 v10, s21, v4
	v_mad_co_u64_u32 v[7:8], null, s20, v4, 0
	v_mul_lo_u32 v11, s20, v9
	s_delay_alu instid0(VALU_DEP_2) | instskip(NEXT) | instid1(VALU_DEP_2)
	v_sub_co_u32 v7, vcc_lo, v5, v7
	v_add3_u32 v8, v8, v11, v10
	s_delay_alu instid0(VALU_DEP_1) | instskip(SKIP_1) | instid1(VALU_DEP_1)
	v_sub_nc_u32_e32 v10, v6, v8
	s_wait_alu 0xfffd
	v_subrev_co_ci_u32_e64 v10, s2, s21, v10, vcc_lo
	v_add_co_u32 v11, s2, v4, 2
	s_wait_alu 0xf1ff
	v_add_co_ci_u32_e64 v12, s2, 0, v9, s2
	v_sub_co_u32 v13, s2, v7, s20
	v_sub_co_ci_u32_e32 v8, vcc_lo, v6, v8, vcc_lo
	s_wait_alu 0xf1ff
	v_subrev_co_ci_u32_e64 v10, s2, 0, v10, s2
	s_delay_alu instid0(VALU_DEP_3) | instskip(NEXT) | instid1(VALU_DEP_3)
	v_cmp_le_u32_e32 vcc_lo, s20, v13
	v_cmp_eq_u32_e64 s2, s21, v8
	s_wait_alu 0xfffd
	v_cndmask_b32_e64 v13, 0, -1, vcc_lo
	v_cmp_le_u32_e32 vcc_lo, s21, v10
	s_wait_alu 0xfffd
	v_cndmask_b32_e64 v14, 0, -1, vcc_lo
	v_cmp_le_u32_e32 vcc_lo, s20, v7
	;; [unrolled: 3-line block ×3, first 2 shown]
	s_wait_alu 0xfffd
	v_cndmask_b32_e64 v15, 0, -1, vcc_lo
	v_cmp_eq_u32_e32 vcc_lo, s21, v10
	s_wait_alu 0xf1ff
	s_delay_alu instid0(VALU_DEP_2)
	v_cndmask_b32_e64 v7, v15, v7, s2
	s_wait_alu 0xfffd
	v_cndmask_b32_e32 v10, v14, v13, vcc_lo
	v_add_co_u32 v13, vcc_lo, v4, 1
	s_wait_alu 0xfffd
	v_add_co_ci_u32_e32 v14, vcc_lo, 0, v9, vcc_lo
	s_delay_alu instid0(VALU_DEP_3) | instskip(SKIP_2) | instid1(VALU_DEP_3)
	v_cmp_ne_u32_e32 vcc_lo, 0, v10
	s_wait_alu 0xfffd
	v_cndmask_b32_e32 v10, v13, v11, vcc_lo
	v_cndmask_b32_e32 v8, v14, v12, vcc_lo
	v_cmp_ne_u32_e32 vcc_lo, 0, v7
	s_wait_alu 0xfffd
	s_delay_alu instid0(VALU_DEP_2)
	v_dual_cndmask_b32 v7, v4, v10 :: v_dual_cndmask_b32 v8, v9, v8
.LBB0_4:                                ;   in Loop: Header=BB0_2 Depth=1
	s_wait_alu 0xfffe
	s_and_not1_saveexec_b32 s2, s22
	s_cbranch_execz .LBB0_6
; %bb.5:                                ;   in Loop: Header=BB0_2 Depth=1
	v_cvt_f32_u32_e32 v4, s20
	s_sub_co_i32 s22, 0, s20
	s_delay_alu instid0(VALU_DEP_1) | instskip(NEXT) | instid1(TRANS32_DEP_1)
	v_rcp_iflag_f32_e32 v4, v4
	v_mul_f32_e32 v4, 0x4f7ffffe, v4
	s_delay_alu instid0(VALU_DEP_1) | instskip(SKIP_1) | instid1(VALU_DEP_1)
	v_cvt_u32_f32_e32 v4, v4
	s_wait_alu 0xfffe
	v_mul_lo_u32 v7, s22, v4
	s_delay_alu instid0(VALU_DEP_1) | instskip(NEXT) | instid1(VALU_DEP_1)
	v_mul_hi_u32 v7, v4, v7
	v_add_nc_u32_e32 v4, v4, v7
	s_delay_alu instid0(VALU_DEP_1) | instskip(NEXT) | instid1(VALU_DEP_1)
	v_mul_hi_u32 v4, v5, v4
	v_mul_lo_u32 v7, v4, s20
	v_add_nc_u32_e32 v8, 1, v4
	s_delay_alu instid0(VALU_DEP_2) | instskip(NEXT) | instid1(VALU_DEP_1)
	v_sub_nc_u32_e32 v7, v5, v7
	v_subrev_nc_u32_e32 v9, s20, v7
	v_cmp_le_u32_e32 vcc_lo, s20, v7
	s_wait_alu 0xfffd
	s_delay_alu instid0(VALU_DEP_2) | instskip(NEXT) | instid1(VALU_DEP_1)
	v_dual_cndmask_b32 v7, v7, v9 :: v_dual_cndmask_b32 v4, v4, v8
	v_cmp_le_u32_e32 vcc_lo, s20, v7
	s_delay_alu instid0(VALU_DEP_2) | instskip(SKIP_1) | instid1(VALU_DEP_1)
	v_add_nc_u32_e32 v8, 1, v4
	s_wait_alu 0xfffd
	v_dual_cndmask_b32 v7, v4, v8 :: v_dual_mov_b32 v8, v3
.LBB0_6:                                ;   in Loop: Header=BB0_2 Depth=1
	s_wait_alu 0xfffe
	s_or_b32 exec_lo, exec_lo, s2
	s_load_b64 s[22:23], s[14:15], 0x0
	s_delay_alu instid0(VALU_DEP_1)
	v_mul_lo_u32 v4, v8, s20
	v_mul_lo_u32 v11, v7, s21
	v_mad_co_u64_u32 v[9:10], null, v7, s20, 0
	s_add_nc_u64 s[16:17], s[16:17], 1
	s_add_nc_u64 s[14:15], s[14:15], 8
	s_wait_alu 0xfffe
	v_cmp_ge_u64_e64 s2, s[16:17], s[6:7]
	s_add_nc_u64 s[18:19], s[18:19], 8
	s_delay_alu instid0(VALU_DEP_2) | instskip(NEXT) | instid1(VALU_DEP_3)
	v_add3_u32 v4, v10, v11, v4
	v_sub_co_u32 v5, vcc_lo, v5, v9
	s_wait_alu 0xfffd
	s_delay_alu instid0(VALU_DEP_2) | instskip(SKIP_3) | instid1(VALU_DEP_2)
	v_sub_co_ci_u32_e32 v4, vcc_lo, v6, v4, vcc_lo
	s_and_b32 vcc_lo, exec_lo, s2
	s_wait_kmcnt 0x0
	v_mul_lo_u32 v6, s23, v5
	v_mul_lo_u32 v4, s22, v4
	v_mad_co_u64_u32 v[1:2], null, s22, v5, v[1:2]
	s_delay_alu instid0(VALU_DEP_1)
	v_add3_u32 v2, v6, v2, v4
	s_wait_alu 0xfffe
	s_cbranch_vccnz .LBB0_9
; %bb.7:                                ;   in Loop: Header=BB0_2 Depth=1
	v_dual_mov_b32 v5, v7 :: v_dual_mov_b32 v6, v8
	s_branch .LBB0_2
.LBB0_8:
	v_dual_mov_b32 v8, v6 :: v_dual_mov_b32 v7, v5
.LBB0_9:
	s_lshl_b64 s[2:3], s[6:7], 3
	v_mul_hi_u32 v3, 0x21d9eae, v0
	s_wait_alu 0xfffe
	s_add_nc_u64 s[2:3], s[12:13], s[2:3]
	v_mov_b32_e32 v68, 0
	s_load_b64 s[2:3], s[2:3], 0x0
	s_load_b64 s[0:1], s[0:1], 0x20
                                        ; implicit-def: $vgpr10_vgpr11
                                        ; implicit-def: $vgpr14_vgpr15
                                        ; implicit-def: $vgpr18_vgpr19
                                        ; implicit-def: $vgpr26_vgpr27
                                        ; implicit-def: $vgpr30_vgpr31
                                        ; implicit-def: $vgpr38_vgpr39
                                        ; implicit-def: $vgpr22_vgpr23
                                        ; implicit-def: $vgpr34_vgpr35
                                        ; implicit-def: $vgpr42_vgpr43
	s_delay_alu instid0(VALU_DEP_2) | instskip(NEXT) | instid1(VALU_DEP_1)
	v_mul_u32_u24_e32 v3, 0x79, v3
	v_sub_nc_u32_e32 v54, v0, v3
	s_wait_kmcnt 0x0
	v_mul_lo_u32 v4, s2, v8
	v_mul_lo_u32 v5, s3, v7
	v_mad_co_u64_u32 v[1:2], null, s2, v7, v[1:2]
	v_cmp_gt_u64_e32 vcc_lo, s[0:1], v[7:8]
                                        ; implicit-def: $vgpr6_vgpr7
	s_delay_alu instid0(VALU_DEP_2) | instskip(NEXT) | instid1(VALU_DEP_1)
	v_add3_u32 v2, v5, v2, v4
	v_lshlrev_b64_e32 v[64:65], 4, v[1:2]
                                        ; implicit-def: $vgpr2_vgpr3
	s_and_saveexec_b32 s1, vcc_lo
	s_cbranch_execz .LBB0_11
; %bb.10:
	v_add_nc_u32_e32 v9, 0x79, v54
	v_mad_co_u64_u32 v[0:1], null, s8, v54, 0
	v_add_nc_u32_e32 v14, 0x16b, v54
	v_add_co_u32 v26, s0, s10, v64
	s_delay_alu instid0(VALU_DEP_4) | instskip(SKIP_4) | instid1(VALU_DEP_4)
	v_mad_co_u64_u32 v[2:3], null, s8, v9, 0
	s_wait_alu 0xf1ff
	v_add_co_ci_u32_e64 v27, s0, s11, v65, s0
	v_add_nc_u32_e32 v24, 0x3c8, v54
	v_dual_mov_b32 v68, v54 :: v_dual_add_nc_u32 v45, 0x4ba, v54
	v_mad_co_u64_u32 v[6:7], null, s9, v54, v[1:2]
	v_add_nc_u32_e32 v12, 0xf2, v54
	v_mad_co_u64_u32 v[7:8], null, s8, v14, 0
	s_delay_alu instid0(VALU_DEP_3) | instskip(NEXT) | instid1(VALU_DEP_3)
	v_mov_b32_e32 v1, v6
	v_mad_co_u64_u32 v[4:5], null, s8, v12, 0
	s_delay_alu instid0(VALU_DEP_3) | instskip(NEXT) | instid1(VALU_DEP_3)
	v_mov_b32_e32 v6, v8
	v_lshlrev_b64_e32 v[0:1], 4, v[0:1]
	s_delay_alu instid0(VALU_DEP_3) | instskip(NEXT) | instid1(VALU_DEP_2)
	v_mad_co_u64_u32 v[9:10], null, s9, v9, v[3:4]
	v_add_co_u32 v0, s0, v26, v0
	s_wait_alu 0xf1ff
	s_delay_alu instid0(VALU_DEP_3) | instskip(NEXT) | instid1(VALU_DEP_3)
	v_add_co_ci_u32_e64 v1, s0, v27, v1, s0
	v_mov_b32_e32 v3, v9
	v_mad_co_u64_u32 v[8:9], null, s9, v12, v[5:6]
	v_add_nc_u32_e32 v16, 0x1e4, v54
	s_delay_alu instid0(VALU_DEP_3) | instskip(NEXT) | instid1(VALU_DEP_3)
	v_lshlrev_b64_e32 v[2:3], 4, v[2:3]
	v_mov_b32_e32 v5, v8
	s_delay_alu instid0(VALU_DEP_3)
	v_mad_co_u64_u32 v[10:11], null, s8, v16, 0
	v_add_nc_u32_e32 v17, 0x25d, v54
	v_mad_co_u64_u32 v[8:9], null, s9, v14, v[6:7]
	v_add_co_u32 v12, s0, v26, v2
	s_wait_alu 0xf1ff
	v_add_co_ci_u32_e64 v13, s0, v27, v3, s0
	v_mov_b32_e32 v6, v11
	v_mad_co_u64_u32 v[14:15], null, s8, v17, 0
	s_clause 0x1
	global_load_b128 v[0:3], v[0:1], off
	global_load_b128 v[40:43], v[12:13], off
	v_lshlrev_b64_e32 v[4:5], 4, v[4:5]
	v_mad_co_u64_u32 v[11:12], null, s9, v16, v[6:7]
	v_lshlrev_b64_e32 v[7:8], 4, v[7:8]
	v_mov_b32_e32 v6, v15
	s_delay_alu instid0(VALU_DEP_4) | instskip(SKIP_2) | instid1(VALU_DEP_3)
	v_add_co_u32 v4, s0, v26, v4
	s_wait_alu 0xf1ff
	v_add_co_ci_u32_e64 v5, s0, v27, v5, s0
	v_mad_co_u64_u32 v[12:13], null, s9, v17, v[6:7]
	v_add_nc_u32_e32 v13, 0x2d6, v54
	v_add_co_u32 v6, s0, v26, v7
	s_wait_alu 0xf1ff
	v_add_co_ci_u32_e64 v7, s0, v27, v8, s0
	v_lshlrev_b64_e32 v[8:9], 4, v[10:11]
	v_mad_co_u64_u32 v[10:11], null, s8, v13, 0
	v_mov_b32_e32 v15, v12
	s_clause 0x1
	global_load_b128 v[32:35], v[4:5], off
	global_load_b128 v[20:23], v[6:7], off
	v_add_co_u32 v4, s0, v26, v8
	s_wait_alu 0xf1ff
	v_add_co_ci_u32_e64 v5, s0, v27, v9, s0
	v_mov_b32_e32 v6, v11
	v_lshlrev_b64_e32 v[7:8], 4, v[14:15]
	v_mad_co_u64_u32 v[14:15], null, s8, v24, 0
	v_add_nc_u32_e32 v18, 0x34f, v54
	s_delay_alu instid0(VALU_DEP_3) | instskip(SKIP_1) | instid1(VALU_DEP_4)
	v_mad_co_u64_u32 v[11:12], null, s9, v13, v[6:7]
	v_add_co_u32 v6, s0, v26, v7
	v_mov_b32_e32 v9, v15
	s_delay_alu instid0(VALU_DEP_4)
	v_mad_co_u64_u32 v[12:13], null, s8, v18, 0
	s_wait_alu 0xf1ff
	v_add_co_ci_u32_e64 v7, s0, v27, v8, s0
	s_clause 0x1
	global_load_b128 v[36:39], v[4:5], off
	global_load_b128 v[28:31], v[6:7], off
	v_lshlrev_b64_e32 v[5:6], 4, v[10:11]
	v_mov_b32_e32 v8, v13
	s_delay_alu instid0(VALU_DEP_1) | instskip(NEXT) | instid1(VALU_DEP_1)
	v_mad_co_u64_u32 v[18:19], null, s9, v18, v[8:9]
	v_mov_b32_e32 v13, v18
	v_mad_co_u64_u32 v[8:9], null, s9, v24, v[9:10]
	v_add_nc_u32_e32 v44, 0x441, v54
	v_mad_co_u64_u32 v[24:25], null, s8, v45, 0
	s_delay_alu instid0(VALU_DEP_3) | instskip(NEXT) | instid1(VALU_DEP_3)
	v_mov_b32_e32 v15, v8
	v_mad_co_u64_u32 v[16:17], null, s8, v44, 0
	s_delay_alu instid0(VALU_DEP_1) | instskip(NEXT) | instid1(VALU_DEP_1)
	v_mov_b32_e32 v4, v17
	v_mad_co_u64_u32 v[7:8], null, s9, v44, v[4:5]
	v_mov_b32_e32 v4, v25
	v_add_co_u32 v5, s0, v26, v5
	v_lshlrev_b64_e32 v[8:9], 4, v[12:13]
	s_wait_alu 0xf1ff
	v_add_co_ci_u32_e64 v6, s0, v27, v6, s0
	s_delay_alu instid0(VALU_DEP_3)
	v_mad_co_u64_u32 v[10:11], null, s9, v45, v[4:5]
	v_lshlrev_b64_e32 v[11:12], 4, v[14:15]
	v_mov_b32_e32 v17, v7
	v_add_co_u32 v7, s0, v26, v8
	s_wait_alu 0xf1ff
	v_add_co_ci_u32_e64 v8, s0, v27, v9, s0
	v_mov_b32_e32 v25, v10
	v_lshlrev_b64_e32 v[13:14], 4, v[16:17]
	v_add_co_u32 v9, s0, v26, v11
	s_wait_alu 0xf1ff
	v_add_co_ci_u32_e64 v10, s0, v27, v12, s0
	v_lshlrev_b64_e32 v[11:12], 4, v[24:25]
	s_delay_alu instid0(VALU_DEP_4) | instskip(SKIP_2) | instid1(VALU_DEP_3)
	v_add_co_u32 v44, s0, v26, v13
	s_wait_alu 0xf1ff
	v_add_co_ci_u32_e64 v45, s0, v27, v14, s0
	v_add_co_u32 v46, s0, v26, v11
	s_wait_alu 0xf1ff
	v_add_co_ci_u32_e64 v47, s0, v27, v12, s0
	s_clause 0x4
	global_load_b128 v[24:27], v[5:6], off
	global_load_b128 v[16:19], v[7:8], off
	;; [unrolled: 1-line block ×5, first 2 shown]
.LBB0_11:
	s_wait_alu 0xfffe
	s_or_b32 exec_lo, exec_lo, s1
	s_wait_loadcnt 0x9
	v_add_f64_e32 v[52:53], v[42:43], v[2:3]
	v_add_f64_e32 v[48:49], v[40:41], v[0:1]
	s_wait_loadcnt 0x0
	v_add_f64_e32 v[44:45], v[4:5], v[40:41]
	v_add_f64_e64 v[46:47], v[40:41], -v[4:5]
	v_add_f64_e32 v[58:59], v[14:15], v[22:23]
	v_add_f64_e64 v[62:63], v[22:23], -v[14:15]
	;; [unrolled: 2-line block ×3, first 2 shown]
	v_and_b32_e32 v66, 0xff, v54
	s_mov_b32 s2, 0x8764f0ba
	s_mov_b32 s6, 0xf8bb580b
	;; [unrolled: 1-line block ×4, first 2 shown]
	v_mul_lo_u16 v75, 0x75, v66
	s_mov_b32 s20, 0x7f775887
	s_mov_b32 s34, 0x9bcd5057
	;; [unrolled: 1-line block ×4, first 2 shown]
	v_lshrrev_b16 v195, 8, v75
	s_mov_b32 s13, 0xbfe14ced
	s_mov_b32 s15, 0x3fda9628
	;; [unrolled: 1-line block ×4, first 2 shown]
	v_sub_nc_u16 v85, v54, v195
	s_mov_b32 s28, 0x43842ef
	s_mov_b32 s21, 0xbfe4f49e
	s_mov_b32 s35, 0xbfeeb42a
	s_wait_alu 0xfffe
	s_mov_b32 s12, s6
	s_mov_b32 s17, 0x3fed1bb4
	;; [unrolled: 1-line block ×9, first 2 shown]
	v_add_f64_e32 v[40:41], v[6:7], v[42:43]
	v_add_f64_e64 v[42:43], v[42:43], -v[6:7]
	v_add_f64_e32 v[52:53], v[34:35], v[52:53]
	v_add_f64_e32 v[48:49], v[32:33], v[48:49]
	s_mov_b32 s25, 0x3fe82f19
	s_mov_b32 s27, 0xbfe82f19
	v_add_f64_e32 v[50:51], v[8:9], v[32:33]
	s_mov_b32 s37, 0x3fd207e7
	v_add_f64_e64 v[32:33], v[32:33], -v[8:9]
	s_mov_b32 s39, 0xbfd207e7
	v_and_b32_e32 v196, 1, v55
	v_lshrrev_b16 v55, 1, v85
	s_wait_alu 0xfffe
	s_mov_b32 s26, s24
	s_mov_b32 s38, s36
	v_mul_f64_e32 v[85:86], s[12:13], v[46:47]
	v_mul_f64_e32 v[87:88], s[14:15], v[44:45]
	;; [unrolled: 1-line block ×6, first 2 shown]
	s_wait_alu 0xfffe
	v_mul_f64_e32 v[97:98], s[26:27], v[46:47]
	v_mul_f64_e32 v[46:47], s[38:39], v[46:47]
	v_add_f64_e32 v[83:84], v[10:11], v[34:35]
	v_add_f64_e64 v[34:35], v[34:35], -v[10:11]
	v_add_f64_e32 v[75:76], v[24:25], v[28:29]
	v_add_f64_e64 v[79:80], v[28:29], -v[24:25]
	;; [unrolled: 2-line block ×3, first 2 shown]
	v_and_b32_e32 v197, 0x7f, v55
	v_mul_f64_e32 v[113:114], s[22:23], v[56:57]
	v_mul_f64_e32 v[115:116], s[34:35], v[56:57]
	;; [unrolled: 1-line block ×6, first 2 shown]
	v_add_f64_e32 v[77:78], v[26:27], v[30:31]
	v_add_f64_e64 v[81:82], v[30:31], -v[26:27]
	v_mul_f64_e32 v[123:124], s[36:37], v[60:61]
	v_mul_f64_e32 v[125:126], s[16:17], v[60:61]
	v_mul_f64_e32 v[127:128], s[12:13], v[60:61]
	v_add_f64_e32 v[22:23], v[22:23], v[52:53]
	v_add_f64_e32 v[20:21], v[20:21], v[48:49]
	v_mul_f64_e32 v[48:49], s[2:3], v[44:45]
	v_mul_f64_e32 v[44:45], s[34:35], v[44:45]
	;; [unrolled: 1-line block ×10, first 2 shown]
	v_fma_f64 v[159:160], v[40:41], s[2:3], v[85:86]
	v_fma_f64 v[161:162], v[42:43], s[16:17], v[87:88]
	;; [unrolled: 1-line block ×7, first 2 shown]
	v_fma_f64 v[89:90], v[40:41], s[14:15], -v[89:90]
	v_fma_f64 v[167:168], v[40:41], s[22:23], v[93:94]
	v_mul_f64_e32 v[111:112], s[28:29], v[32:33]
	v_mul_f64_e32 v[32:33], s[6:7], v[32:33]
	v_fma_f64 v[85:86], v[40:41], s[2:3], -v[85:86]
	v_mul_f64_e32 v[60:61], s[26:27], v[60:61]
	v_add_f64_e32 v[69:70], v[18:19], v[38:39]
	v_add_f64_e64 v[73:74], v[38:39], -v[18:19]
	v_mul_f64_e32 v[129:130], s[20:21], v[66:67]
	v_mul_f64_e32 v[131:132], s[2:3], v[66:67]
	;; [unrolled: 1-line block ×4, first 2 shown]
	v_fma_f64 v[187:188], v[62:63], s[38:39], v[115:116]
	v_fma_f64 v[189:190], v[62:63], s[24:25], v[55:56]
	;; [unrolled: 1-line block ×3, first 2 shown]
	v_mul_f64_e32 v[137:138], s[28:29], v[71:72]
	v_mul_f64_e32 v[139:140], s[12:13], v[71:72]
	;; [unrolled: 1-line block ×4, first 2 shown]
	v_add_f64_e32 v[22:23], v[38:39], v[22:23]
	v_add_f64_e32 v[20:21], v[36:37], v[20:21]
	v_fma_f64 v[157:158], v[42:43], s[6:7], v[48:49]
	v_fma_f64 v[48:49], v[42:43], s[12:13], v[48:49]
	;; [unrolled: 1-line block ×5, first 2 shown]
	v_fma_f64 v[91:92], v[40:41], s[22:23], -v[93:94]
	v_fma_f64 v[93:94], v[40:41], s[20:21], v[97:98]
	v_fma_f64 v[173:174], v[34:35], s[24:25], v[99:100]
	;; [unrolled: 1-line block ×8, first 2 shown]
	v_add_f64_e32 v[87:88], v[0:1], v[87:88]
	v_add_f64_e32 v[169:170], v[0:1], v[169:170]
	;; [unrolled: 1-line block ×4, first 2 shown]
	v_fma_f64 v[181:182], v[83:84], s[34:35], v[109:110]
	v_add_f64_e32 v[95:96], v[0:1], v[95:96]
	v_add_f64_e32 v[163:164], v[2:3], v[163:164]
	;; [unrolled: 1-line block ×4, first 2 shown]
	v_fma_f64 v[183:184], v[83:84], s[22:23], v[111:112]
	v_fma_f64 v[111:112], v[83:84], s[22:23], -v[111:112]
	v_fma_f64 v[185:186], v[83:84], s[2:3], v[32:33]
	v_fma_f64 v[32:33], v[83:84], s[2:3], -v[32:33]
	v_fma_f64 v[109:110], v[83:84], s[34:35], -v[109:110]
	v_mul_f64_e32 v[36:37], s[22:23], v[66:67]
	v_mul_f64_e32 v[66:67], s[14:15], v[66:67]
	v_fma_f64 v[191:192], v[58:59], s[2:3], v[127:128]
	v_fma_f64 v[127:128], v[58:59], s[2:3], -v[127:128]
	v_fma_f64 v[193:194], v[58:59], s[20:21], v[60:61]
	v_mul_f64_e32 v[143:144], s[34:35], v[75:76]
	v_mul_f64_e32 v[145:146], s[2:3], v[75:76]
	;; [unrolled: 1-line block ×3, first 2 shown]
	v_add_f64_e32 v[22:23], v[30:31], v[22:23]
	v_add_f64_e32 v[20:21], v[28:29], v[20:21]
	v_fma_f64 v[28:29], v[40:41], s[20:21], -v[97:98]
	v_fma_f64 v[97:98], v[40:41], s[34:35], v[46:47]
	v_fma_f64 v[40:41], v[40:41], s[34:35], -v[46:47]
	v_fma_f64 v[46:47], v[34:35], s[16:17], v[52:53]
	v_fma_f64 v[52:53], v[34:35], s[18:19], v[52:53]
	;; [unrolled: 1-line block ×4, first 2 shown]
	v_add_f64_e32 v[48:49], v[0:1], v[48:49]
	v_add_f64_e32 v[171:172], v[0:1], v[171:172]
	;; [unrolled: 1-line block ×4, first 2 shown]
	v_fma_f64 v[30:31], v[83:84], s[14:15], -v[105:106]
	v_fma_f64 v[105:106], v[83:84], s[20:21], v[107:108]
	v_fma_f64 v[107:108], v[83:84], s[20:21], -v[107:108]
	v_add_f64_e32 v[157:158], v[0:1], v[157:158]
	v_add_f64_e32 v[93:94], v[2:3], v[93:94]
	;; [unrolled: 1-line block ×4, first 2 shown]
	v_fma_f64 v[83:84], v[62:63], s[28:29], v[113:114]
	v_fma_f64 v[113:114], v[62:63], s[30:31], v[113:114]
	;; [unrolled: 1-line block ×4, first 2 shown]
	v_add_f64_e32 v[95:96], v[103:104], v[95:96]
	v_mul_f64_e32 v[149:150], s[14:15], v[75:76]
	v_mul_f64_e32 v[75:76], s[22:23], v[75:76]
	;; [unrolled: 1-line block ×3, first 2 shown]
	v_fma_f64 v[103:104], v[73:74], s[6:7], v[131:132]
	v_mul_f64_e32 v[151:152], s[6:7], v[79:80]
	v_mul_f64_e32 v[153:154], s[26:27], v[79:80]
	;; [unrolled: 1-line block ×4, first 2 shown]
	v_cmp_eq_u32_e64 s0, 1, v196
	v_add_f64_e32 v[22:23], v[26:27], v[22:23]
	v_add_f64_e32 v[20:21], v[24:25], v[20:21]
	v_add_f64_e32 v[26:27], v[2:3], v[28:29]
	v_add_f64_e32 v[28:29], v[2:3], v[97:98]
	v_add_f64_e32 v[40:41], v[2:3], v[40:41]
	v_add_f64_e32 v[2:3], v[2:3], v[85:86]
	v_fma_f64 v[24:25], v[62:63], s[36:37], v[115:116]
	v_fma_f64 v[115:116], v[62:63], s[18:19], v[117:118]
	;; [unrolled: 1-line block ×4, first 2 shown]
	v_add_f64_e32 v[48:49], v[52:53], v[48:49]
	v_add_f64_e32 v[52:53], v[99:100], v[87:88]
	;; [unrolled: 1-line block ×8, first 2 shown]
	v_fma_f64 v[85:86], v[58:59], s[34:35], v[123:124]
	v_fma_f64 v[97:98], v[58:59], s[34:35], -v[123:124]
	v_fma_f64 v[123:124], v[58:59], s[14:15], v[125:126]
	v_add_f64_e32 v[46:47], v[46:47], v[157:158]
	v_add_f64_e32 v[105:106], v[105:106], v[163:164]
	;; [unrolled: 1-line block ×5, first 2 shown]
	v_fma_f64 v[125:126], v[58:59], s[14:15], -v[125:126]
	v_add_f64_e32 v[0:1], v[175:176], v[0:1]
	v_fma_f64 v[121:122], v[58:59], s[22:23], -v[121:122]
	v_fma_f64 v[101:102], v[73:74], s[30:31], v[36:37]
	v_fma_f64 v[36:37], v[73:74], s[28:29], v[36:37]
	v_add_f64_e32 v[18:19], v[18:19], v[22:23]
	v_add_f64_e32 v[16:17], v[16:17], v[20:21]
	;; [unrolled: 1-line block ×4, first 2 shown]
	v_fma_f64 v[20:21], v[58:59], s[20:21], -v[60:61]
	v_add_f64_e32 v[28:29], v[32:33], v[40:41]
	v_add_f64_e32 v[32:33], v[109:110], v[91:92]
	;; [unrolled: 1-line block ×3, first 2 shown]
	v_fma_f64 v[57:58], v[73:74], s[24:25], v[129:130]
	v_fma_f64 v[59:60], v[73:74], s[26:27], v[129:130]
	;; [unrolled: 1-line block ×7, first 2 shown]
	v_add_f64_e32 v[24:25], v[24:25], v[52:53]
	v_add_f64_e32 v[52:53], v[165:166], v[87:88]
	;; [unrolled: 1-line block ×7, first 2 shown]
	v_fma_f64 v[133:134], v[73:74], s[38:39], v[133:134]
	v_fma_f64 v[91:92], v[69:70], s[22:23], v[137:138]
	;; [unrolled: 1-line block ×3, first 2 shown]
	v_add_f64_e32 v[46:47], v[83:84], v[46:47]
	v_add_f64_e32 v[48:49], v[113:114], v[48:49]
	;; [unrolled: 1-line block ×6, first 2 shown]
	v_fma_f64 v[55:56], v[69:70], s[34:35], v[141:142]
	v_fma_f64 v[95:96], v[69:70], s[34:35], -v[141:142]
	v_fma_f64 v[99:100], v[69:70], s[14:15], v[71:72]
	v_add_f64_e32 v[93:94], v[191:192], v[93:94]
	v_fma_f64 v[73:74], v[69:70], s[20:21], -v[135:136]
	v_fma_f64 v[109:110], v[69:70], s[22:23], -v[137:138]
	v_add_f64_e32 v[0:1], v[115:116], v[0:1]
	v_add_f64_e32 v[14:15], v[14:15], v[18:19]
	;; [unrolled: 1-line block ×5, first 2 shown]
	v_fma_f64 v[16:17], v[69:70], s[2:3], -v[139:140]
	v_fma_f64 v[69:70], v[69:70], s[14:15], -v[71:72]
	v_add_f64_e32 v[20:21], v[20:21], v[28:29]
	v_add_f64_e32 v[26:27], v[125:126], v[32:33]
	;; [unrolled: 1-line block ×3, first 2 shown]
	v_fma_f64 v[71:72], v[81:82], s[36:37], v[143:144]
	v_fma_f64 v[113:114], v[81:82], s[38:39], v[143:144]
	;; [unrolled: 1-line block ×11, first 2 shown]
	v_add_f64_e32 v[24:25], v[36:37], v[24:25]
	v_add_f64_e32 v[36:37], v[131:132], v[52:53]
	;; [unrolled: 1-line block ×10, first 2 shown]
	v_fma_f64 v[44:45], v[77:78], s[2:3], -v[151:152]
	v_fma_f64 v[57:58], v[77:78], s[20:21], v[153:154]
	v_fma_f64 v[59:60], v[77:78], s[20:21], -v[153:154]
	v_fma_f64 v[83:84], v[77:78], s[14:15], v[155:156]
	;; [unrolled: 2-line block ×3, first 2 shown]
	v_add_f64_e32 v[61:62], v[91:92], v[61:62]
	v_add_f64_e32 v[55:56], v[55:56], v[93:94]
	;; [unrolled: 1-line block ×4, first 2 shown]
	v_fma_f64 v[12:13], v[77:78], s[34:35], -v[38:39]
	v_fma_f64 v[38:39], v[77:78], s[2:3], v[151:152]
	v_fma_f64 v[77:78], v[77:78], s[22:23], -v[79:80]
	v_add_f64_e32 v[79:80], v[111:112], v[89:90]
	v_add_f64_e32 v[14:15], v[95:96], v[18:19]
	;; [unrolled: 1-line block ×8, first 2 shown]
	v_add_nc_u16 v23, v197, v195
	s_wait_alu 0xf1ff
	v_cndmask_b32_e64 v22, 0, 0x2998, s0
	s_delay_alu instid0(VALU_DEP_2)
	v_lshrrev_b16 v23, 3, v23
	v_add_f64_e32 v[36:37], v[97:98], v[36:37]
	v_add_f64_e32 v[30:31], v[107:108], v[30:31]
	;; [unrolled: 1-line block ×13, first 2 shown]
	v_mul_lo_u16 v9, v23, 11
	v_add_f64_e32 v[38:39], v[38:39], v[61:62]
	v_add_nc_u32_e32 v8, 0, v22
	v_add_f64_e32 v[50:51], v[57:58], v[79:80]
	v_add_f64_e32 v[57:58], v[87:88], v[14:15]
	;; [unrolled: 1-line block ×8, first 2 shown]
	v_sub_nc_u16 v9, v54, v9
	v_mad_u32_u24 v63, 0x58, v54, v8
	v_lshl_add_u32 v69, v54, 3, v8
	ds_store_2addr_b64 v63, v[36:37], v[30:31] offset0:4 offset1:5
	ds_store_2addr_b64 v63, v[34:35], v[52:53] offset0:6 offset1:7
	ds_store_2addr_b64 v63, v[32:33], v[48:49] offset0:8 offset1:9
	ds_store_b64 v63, v[46:47] offset:80
	ds_store_2addr_b64 v63, v[40:41], v[0:1] offset0:2 offset1:3
	ds_store_2addr_b64 v63, v[4:5], v[26:27] offset1:1
	v_and_b32_e32 v24, 0xff, v9
	v_mad_i32_i24 v60, 0xffffffb0, v54, v63
	global_wb scope:SCOPE_SE
	s_wait_dscnt 0x0
	s_barrier_signal -1
	s_barrier_wait -1
	v_mul_u32_u24_e32 v2, 10, v24
	v_add_nc_u32_e32 v71, 0x800, v60
	v_add_nc_u32_e32 v73, 0x1000, v60
	;; [unrolled: 1-line block ×4, first 2 shown]
	v_lshlrev_b32_e32 v59, 4, v2
	global_inv scope:SCOPE_SE
	ds_load_b64 v[4:5], v69
	ds_load_2addr_b64 v[6:9], v60 offset0:121 offset1:242
	ds_load_2addr_b64 v[25:28], v71 offset0:107 offset1:228
	ds_load_2addr_b64 v[0:3], v73 offset0:93 offset1:214
	ds_load_2addr_b64 v[29:32], v72 offset0:79 offset1:200
	ds_load_2addr_b64 v[12:15], v70 offset0:65 offset1:186
	global_wb scope:SCOPE_SE
	s_wait_dscnt 0x0
	s_barrier_signal -1
	s_barrier_wait -1
	global_inv scope:SCOPE_SE
	ds_store_2addr_b64 v63, v[10:11], v[42:43] offset1:1
	ds_store_2addr_b64 v63, v[38:39], v[50:51] offset0:2 offset1:3
	ds_store_2addr_b64 v63, v[55:56], v[18:19] offset0:4 offset1:5
	;; [unrolled: 1-line block ×4, first 2 shown]
	ds_store_b64 v63, v[61:62] offset:80
	global_wb scope:SCOPE_SE
	s_wait_dscnt 0x0
	s_barrier_signal -1
	s_barrier_wait -1
	global_inv scope:SCOPE_SE
	s_clause 0x9
	global_load_b128 v[16:19], v59, s[4:5]
	global_load_b128 v[33:36], v59, s[4:5] offset:16
	global_load_b128 v[37:40], v59, s[4:5] offset:144
	;; [unrolled: 1-line block ×9, first 2 shown]
	ds_load_2addr_b64 v[86:89], v60 offset0:121 offset1:242
	ds_load_2addr_b64 v[90:93], v70 offset0:65 offset1:186
	;; [unrolled: 1-line block ×5, first 2 shown]
	s_wait_loadcnt_dscnt 0x904
	v_mul_f64_e32 v[10:11], v[86:87], v[18:19]
	v_mul_f64_e32 v[18:19], v[6:7], v[18:19]
	s_wait_loadcnt 0x8
	v_mul_f64_e32 v[20:21], v[88:89], v[35:36]
	v_mul_f64_e32 v[35:36], v[8:9], v[35:36]
	s_wait_loadcnt_dscnt 0x302
	v_mul_f64_e32 v[106:107], v[96:97], v[57:58]
	s_wait_loadcnt_dscnt 0x200
	v_mul_f64_e32 v[108:109], v[102:103], v[76:77]
	s_wait_loadcnt 0x1
	v_mul_f64_e32 v[110:111], v[98:99], v[80:81]
	s_wait_loadcnt 0x0
	v_mul_f64_e32 v[116:117], v[104:105], v[84:85]
	v_mul_f64_e32 v[80:81], v[29:30], v[80:81]
	;; [unrolled: 1-line block ×5, first 2 shown]
	v_fma_f64 v[61:62], v[6:7], v[16:17], -v[10:11]
	v_fma_f64 v[66:67], v[86:87], v[16:17], v[18:19]
	v_mul_f64_e32 v[6:7], v[14:15], v[39:40]
	ds_load_b64 v[18:19], v69
	v_mul_f64_e32 v[10:11], v[92:93], v[39:40]
	v_mul_f64_e32 v[39:40], v[12:13], v[43:44]
	;; [unrolled: 1-line block ×7, first 2 shown]
	v_fma_f64 v[112:113], v[8:9], v[33:34], -v[20:21]
	v_fma_f64 v[33:34], v[88:89], v[33:34], v[35:36]
	v_fma_f64 v[20:21], v[29:30], v[78:79], -v[110:111]
	v_fma_f64 v[2:3], v[2:3], v[82:83], -v[116:117]
	;; [unrolled: 1-line block ×3, first 2 shown]
	global_wb scope:SCOPE_SE
	s_wait_dscnt 0x0
	s_barrier_signal -1
	s_barrier_wait -1
	global_inv scope:SCOPE_SE
	v_add_f64_e32 v[114:115], v[4:5], v[61:62]
	v_add_f64_e32 v[35:36], v[18:19], v[66:67]
	v_fma_f64 v[6:7], v[92:93], v[37:38], v[6:7]
	v_fma_f64 v[8:9], v[14:15], v[37:38], -v[10:11]
	v_fma_f64 v[10:11], v[90:91], v[41:42], v[39:40]
	v_fma_f64 v[12:13], v[12:13], v[41:42], -v[16:17]
	;; [unrolled: 2-line block ×3, first 2 shown]
	v_fma_f64 v[25:26], v[25:26], v[45:46], -v[47:48]
	v_fma_f64 v[16:17], v[31:32], v[49:50], -v[51:52]
	v_fma_f64 v[41:42], v[102:103], v[74:75], v[76:77]
	v_fma_f64 v[31:32], v[96:97], v[55:56], v[57:58]
	v_fma_f64 v[0:1], v[98:99], v[78:79], v[80:81]
	v_fma_f64 v[14:15], v[100:101], v[49:50], v[86:87]
	v_fma_f64 v[43:44], v[104:105], v[82:83], v[84:85]
	v_add_f64_e64 v[90:91], v[27:28], -v[20:21]
	v_add_f64_e32 v[82:83], v[27:28], v[20:21]
	v_add_f64_e32 v[29:30], v[114:115], v[112:113]
	;; [unrolled: 1-line block ×3, first 2 shown]
	v_add_f64_e64 v[45:46], v[66:67], -v[6:7]
	v_add_f64_e64 v[47:48], v[61:62], -v[8:9]
	;; [unrolled: 1-line block ×3, first 2 shown]
	v_add_f64_e32 v[57:58], v[61:62], v[8:9]
	v_add_f64_e64 v[51:52], v[112:113], -v[12:13]
	v_add_f64_e64 v[84:85], v[39:40], -v[2:3]
	v_add_f64_e32 v[61:62], v[66:67], v[6:7]
	v_add_f64_e64 v[74:75], v[25:26], -v[16:17]
	v_add_f64_e32 v[76:77], v[25:26], v[16:17]
	v_add_f64_e32 v[66:67], v[112:113], v[12:13]
	v_add_f64_e64 v[80:81], v[31:32], -v[0:1]
	v_add_f64_e32 v[92:93], v[31:32], v[0:1]
	v_add_f64_e64 v[55:56], v[37:38], -v[14:15]
	v_add_f64_e32 v[78:79], v[37:38], v[14:15]
	v_add_f64_e32 v[33:34], v[33:34], v[10:11]
	;; [unrolled: 1-line block ×3, first 2 shown]
	v_add_f64_e64 v[88:89], v[41:42], -v[43:44]
	v_mul_f64_e32 v[146:147], s[26:27], v[90:91]
	v_mul_f64_e32 v[148:149], s[28:29], v[90:91]
	;; [unrolled: 1-line block ×5, first 2 shown]
	v_add_f64_e32 v[25:26], v[29:30], v[25:26]
	v_add_f64_e32 v[35:36], v[35:36], v[37:38]
	v_mul_f64_e32 v[94:95], s[12:13], v[45:46]
	v_mul_f64_e32 v[98:99], s[18:19], v[45:46]
	;; [unrolled: 1-line block ×22, first 2 shown]
	v_add_f64_e32 v[29:30], v[39:40], v[2:3]
	v_mul_f64_e32 v[122:123], s[28:29], v[51:52]
	v_mul_f64_e32 v[51:52], s[6:7], v[51:52]
	;; [unrolled: 1-line block ×13, first 2 shown]
	v_add_f64_e32 v[25:26], v[25:26], v[27:28]
	v_add_f64_e32 v[31:32], v[35:36], v[31:32]
	v_mul_f64_e32 v[35:36], s[30:31], v[84:85]
	v_fma_f64 v[84:85], v[57:58], s[2:3], -v[94:95]
	v_fma_f64 v[172:173], v[57:58], s[14:15], -v[98:99]
	v_fma_f64 v[98:99], v[57:58], s[14:15], v[98:99]
	v_fma_f64 v[176:177], v[57:58], s[22:23], -v[102:103]
	v_fma_f64 v[180:181], v[57:58], s[20:21], -v[106:107]
	v_fma_f64 v[106:107], v[57:58], s[20:21], v[106:107]
	v_fma_f64 v[182:183], v[57:58], s[34:35], -v[45:46]
	v_fma_f64 v[45:46], v[57:58], s[34:35], v[45:46]
	v_fma_f64 v[94:95], v[57:58], s[2:3], v[94:95]
	v_fma_f64 v[57:58], v[57:58], s[22:23], v[102:103]
	v_fma_f64 v[170:171], v[61:62], s[2:3], v[96:97]
	v_fma_f64 v[174:175], v[61:62], s[14:15], v[100:101]
	v_fma_f64 v[100:101], v[61:62], s[14:15], -v[100:101]
	v_fma_f64 v[178:179], v[61:62], s[22:23], v[104:105]
	v_fma_f64 v[102:103], v[61:62], s[22:23], -v[104:105]
	v_fma_f64 v[104:105], v[61:62], s[20:21], -v[108:109]
	;; [unrolled: 1-line block ×4, first 2 shown]
	v_fma_f64 v[112:113], v[66:67], s[20:21], v[112:113]
	v_fma_f64 v[186:187], v[66:67], s[34:35], -v[114:115]
	v_fma_f64 v[188:189], v[66:67], s[22:23], -v[37:38]
	v_fma_f64 v[37:38], v[66:67], s[22:23], v[37:38]
	v_fma_f64 v[190:191], v[66:67], s[2:3], -v[49:50]
	v_fma_f64 v[49:50], v[66:67], s[2:3], v[49:50]
	v_fma_f64 v[114:115], v[66:67], s[34:35], v[114:115]
	;; [unrolled: 1-line block ×3, first 2 shown]
	v_fma_f64 v[118:119], v[33:34], s[20:21], -v[118:119]
	v_fma_f64 v[194:195], v[33:34], s[34:35], v[120:121]
	v_fma_f64 v[196:197], v[33:34], s[2:3], v[51:52]
	v_mul_f64_e32 v[27:28], s[26:27], v[80:81]
	v_mul_f64_e32 v[142:143], s[12:13], v[80:81]
	;; [unrolled: 1-line block ×4, first 2 shown]
	v_fma_f64 v[198:199], v[76:77], s[2:3], -v[130:131]
	v_fma_f64 v[200:201], v[76:77], s[20:21], -v[55:56]
	v_add_f64_e32 v[25:26], v[25:26], v[39:40]
	v_add_f64_e32 v[31:32], v[31:32], v[41:42]
	v_fma_f64 v[39:40], v[61:62], s[20:21], v[108:109]
	v_fma_f64 v[108:109], v[61:62], s[34:35], v[47:48]
	v_fma_f64 v[47:48], v[61:62], s[34:35], -v[47:48]
	v_fma_f64 v[61:62], v[66:67], s[14:15], -v[110:111]
	v_add_f64_e32 v[84:85], v[4:5], v[84:85]
	v_add_f64_e32 v[172:173], v[4:5], v[172:173]
	;; [unrolled: 1-line block ×9, first 2 shown]
	v_fma_f64 v[110:111], v[66:67], s[14:15], v[110:111]
	v_add_f64_e32 v[4:5], v[4:5], v[94:95]
	v_fma_f64 v[66:67], v[33:34], s[14:15], v[116:117]
	v_add_f64_e32 v[170:171], v[18:19], v[170:171]
	v_add_f64_e32 v[174:175], v[18:19], v[174:175]
	;; [unrolled: 1-line block ×4, first 2 shown]
	v_fma_f64 v[41:42], v[33:34], s[34:35], -v[120:121]
	v_fma_f64 v[120:121], v[33:34], s[22:23], v[122:123]
	v_fma_f64 v[122:123], v[33:34], s[22:23], -v[122:123]
	v_fma_f64 v[116:117], v[33:34], s[14:15], -v[116:117]
	;; [unrolled: 1-line block ×3, first 2 shown]
	v_add_f64_e32 v[102:103], v[18:19], v[102:103]
	v_fma_f64 v[51:52], v[76:77], s[22:23], -v[124:125]
	v_fma_f64 v[94:95], v[76:77], s[34:35], v[126:127]
	v_fma_f64 v[130:131], v[76:77], s[2:3], v[130:131]
	;; [unrolled: 1-line block ×6, first 2 shown]
	v_fma_f64 v[134:135], v[78:79], s[34:35], -v[134:135]
	v_fma_f64 v[136:137], v[78:79], s[14:15], -v[136:137]
	v_mul_f64_e32 v[154:155], s[38:39], v[88:89]
	v_add_f64_e32 v[2:3], v[25:26], v[2:3]
	v_add_f64_e32 v[31:32], v[31:32], v[43:44]
	;; [unrolled: 1-line block ×7, first 2 shown]
	v_fma_f64 v[25:26], v[76:77], s[34:35], -v[126:127]
	v_fma_f64 v[126:127], v[76:77], s[14:15], -v[128:129]
	v_add_f64_e32 v[61:62], v[61:62], v[84:85]
	v_add_f64_e32 v[84:85], v[184:185], v[172:173]
	;; [unrolled: 1-line block ×4, first 2 shown]
	v_fma_f64 v[96:97], v[78:79], s[2:3], v[138:139]
	v_fma_f64 v[108:109], v[78:79], s[2:3], -v[138:139]
	v_add_f64_e32 v[138:139], v[188:189], v[180:181]
	v_add_f64_e32 v[37:38], v[37:38], v[106:107]
	;; [unrolled: 1-line block ×4, first 2 shown]
	v_fma_f64 v[128:129], v[76:77], s[14:15], v[128:129]
	v_add_f64_e32 v[49:50], v[114:115], v[57:58]
	v_add_f64_e32 v[4:5], v[110:111], v[4:5]
	v_fma_f64 v[76:77], v[78:79], s[22:23], v[132:133]
	v_add_f64_e32 v[66:67], v[66:67], v[170:171]
	v_add_f64_e32 v[170:171], v[192:193], v[174:175]
	;; [unrolled: 1-line block ×4, first 2 shown]
	v_fma_f64 v[57:58], v[78:79], s[20:21], -v[74:75]
	v_add_f64_e32 v[41:42], v[41:42], v[102:103]
	v_fma_f64 v[132:133], v[78:79], s[22:23], -v[132:133]
	v_mul_f64_e32 v[156:157], s[6:7], v[88:89]
	v_mul_f64_e32 v[158:159], s[26:27], v[88:89]
	v_fma_f64 v[110:111], v[82:83], s[22:23], v[140:141]
	v_fma_f64 v[114:115], v[82:83], s[2:3], -v[142:143]
	v_mul_f64_e32 v[160:161], s[16:17], v[88:89]
	v_mul_f64_e32 v[88:89], s[30:31], v[88:89]
	v_fma_f64 v[172:173], v[82:83], s[14:15], -v[80:81]
	v_fma_f64 v[80:81], v[82:83], s[14:15], v[80:81]
	v_add_f64_e32 v[2:3], v[2:3], v[20:21]
	v_add_f64_e32 v[0:1], v[31:32], v[0:1]
	v_fma_f64 v[20:21], v[78:79], s[20:21], v[74:75]
	v_add_f64_e32 v[39:40], v[120:121], v[39:40]
	v_add_f64_e32 v[31:32], v[122:123], v[43:44]
	;; [unrolled: 1-line block ×5, first 2 shown]
	v_fma_f64 v[74:75], v[82:83], s[20:21], -v[27:28]
	v_fma_f64 v[78:79], v[82:83], s[22:23], -v[140:141]
	v_add_f64_e32 v[51:52], v[51:52], v[61:62]
	v_add_f64_e32 v[25:26], v[25:26], v[84:85]
	;; [unrolled: 1-line block ×4, first 2 shown]
	v_fma_f64 v[140:141], v[82:83], s[2:3], v[142:143]
	v_fma_f64 v[142:143], v[82:83], s[34:35], -v[144:145]
	v_add_f64_e32 v[94:95], v[198:199], v[138:139]
	v_add_f64_e32 v[98:99], v[200:201], v[106:107]
	v_fma_f64 v[144:145], v[82:83], s[34:35], v[144:145]
	v_add_f64_e32 v[37:38], v[130:131], v[37:38]
	v_add_f64_e32 v[45:46], v[55:56], v[45:46]
	;; [unrolled: 1-line block ×3, first 2 shown]
	v_fma_f64 v[27:28], v[82:83], s[20:21], v[27:28]
	v_add_f64_e32 v[4:5], v[124:125], v[4:5]
	v_fma_f64 v[82:83], v[92:93], s[20:21], v[146:147]
	v_add_f64_e32 v[66:67], v[76:77], v[66:67]
	;; [unrolled: 2-line block ×3, first 2 shown]
	v_add_f64_e32 v[118:119], v[204:205], v[118:119]
	v_fma_f64 v[102:103], v[92:93], s[22:23], -v[148:149]
	v_fma_f64 v[104:105], v[92:93], s[34:35], v[152:153]
	v_fma_f64 v[106:107], v[92:93], s[34:35], -v[152:153]
	v_fma_f64 v[112:113], v[92:93], s[14:15], v[90:91]
	v_add_f64_e32 v[100:101], v[134:135], v[100:101]
	v_fma_f64 v[90:91], v[92:93], s[14:15], -v[90:91]
	v_fma_f64 v[55:56], v[92:93], s[2:3], -v[150:151]
	;; [unrolled: 1-line block ×4, first 2 shown]
	v_add_f64_e32 v[2:3], v[2:3], v[16:17]
	v_add_f64_e32 v[0:1], v[0:1], v[14:15]
	v_fma_f64 v[16:17], v[92:93], s[2:3], v[150:151]
	v_add_f64_e32 v[39:40], v[96:97], v[39:40]
	v_add_f64_e32 v[14:15], v[108:109], v[31:32]
	;; [unrolled: 1-line block ×6, first 2 shown]
	v_fma_f64 v[92:93], v[29:30], s[34:35], -v[154:155]
	v_fma_f64 v[122:123], v[29:30], s[2:3], v[156:157]
	v_fma_f64 v[124:125], v[29:30], s[20:21], -v[158:159]
	v_add_f64_e32 v[43:44], v[74:75], v[51:52]
	v_add_f64_e32 v[25:26], v[78:79], v[25:26]
	;; [unrolled: 1-line block ×4, first 2 shown]
	v_fma_f64 v[128:129], v[29:30], s[14:15], -v[160:161]
	v_fma_f64 v[41:42], v[29:30], s[22:23], -v[88:89]
	v_add_f64_e32 v[61:62], v[142:143], v[94:95]
	v_add_f64_e32 v[74:75], v[172:173], v[98:99]
	v_fma_f64 v[116:117], v[29:30], s[34:35], v[154:155]
	v_fma_f64 v[126:127], v[29:30], s[20:21], v[158:159]
	;; [unrolled: 1-line block ×4, first 2 shown]
	v_add_f64_e32 v[37:38], v[144:145], v[37:38]
	v_add_f64_e32 v[45:46], v[80:81], v[45:46]
	;; [unrolled: 1-line block ×5, first 2 shown]
	v_fma_f64 v[78:79], v[86:87], s[2:3], v[164:165]
	v_fma_f64 v[84:85], v[86:87], s[20:21], v[166:167]
	v_add_f64_e32 v[47:48], v[47:48], v[76:77]
	v_fma_f64 v[80:81], v[86:87], s[2:3], -v[164:165]
	v_fma_f64 v[94:95], v[86:87], s[14:15], v[168:169]
	v_fma_f64 v[98:99], v[86:87], s[22:23], v[35:36]
	v_add_f64_e32 v[76:77], v[102:103], v[100:101]
	v_fma_f64 v[96:97], v[86:87], s[14:15], -v[168:169]
	v_fma_f64 v[35:36], v[86:87], s[22:23], -v[35:36]
	v_add_f64_e32 v[2:3], v[2:3], v[12:13]
	v_fma_f64 v[12:13], v[86:87], s[34:35], v[162:163]
	v_add_f64_e32 v[0:1], v[0:1], v[10:11]
	v_add_f64_e32 v[16:17], v[16:17], v[118:119]
	v_add_f64_e32 v[39:40], v[104:105], v[39:40]
	v_add_f64_e32 v[10:11], v[106:107], v[14:15]
	v_add_f64_e32 v[14:15], v[112:113], v[20:21]
	v_add_f64_e32 v[20:21], v[90:91], v[31:32]
	v_fma_f64 v[88:89], v[86:87], s[20:21], -v[166:167]
	v_add_f64_e32 v[31:32], v[55:56], v[33:34]
	v_fma_f64 v[27:28], v[86:87], s[34:35], -v[162:163]
	v_add_f64_e32 v[18:19], v[146:147], v[18:19]
	v_add_f64_e32 v[33:34], v[92:93], v[43:44]
	;; [unrolled: 1-line block ×14, first 2 shown]
	v_and_b32_e32 v8, 0xffff, v23
	v_lshlrev_b32_e32 v9, 3, v24
	v_add_f64_e32 v[23:24], v[12:13], v[66:67]
	v_add_f64_e32 v[61:62], v[0:1], v[6:7]
	v_add_f64_e32 v[57:58], v[84:85], v[16:17]
	v_add_f64_e32 v[39:40], v[94:95], v[39:40]
	v_add_f64_e32 v[76:77], v[98:99], v[14:15]
	v_add_f64_e32 v[74:75], v[96:97], v[10:11]
	v_add_f64_e32 v[20:21], v[35:36], v[20:21]
	v_mad_u32_u24 v8, 0x3c8, v8, 0
	v_add_f64_e32 v[31:32], v[88:89], v[31:32]
	v_add_f64_e32 v[27:28], v[27:28], v[18:19]
	s_delay_alu instid0(VALU_DEP_3)
	v_add3_u32 v22, v8, v9, v22
	ds_store_2addr_b64 v22, v[25:26], v[51:52] offset0:22 offset1:33
	ds_store_2addr_b64 v22, v[55:56], v[41:42] offset0:44 offset1:55
	;; [unrolled: 1-line block ×4, first 2 shown]
	ds_store_b64 v22, v[4:5] offset:880
	ds_store_2addr_b64 v22, v[2:3], v[33:34] offset1:11
	global_wb scope:SCOPE_SE
	s_wait_dscnt 0x0
	s_barrier_signal -1
	s_barrier_wait -1
	global_inv scope:SCOPE_SE
	ds_load_b64 v[66:67], v69
	ds_load_2addr_b64 v[16:19], v60 offset0:121 offset1:242
	ds_load_2addr_b64 v[4:7], v71 offset0:107 offset1:228
	;; [unrolled: 1-line block ×5, first 2 shown]
	global_wb scope:SCOPE_SE
	s_wait_dscnt 0x0
	s_barrier_signal -1
	s_barrier_wait -1
	global_inv scope:SCOPE_SE
	ds_store_2addr_b64 v22, v[61:62], v[23:24] offset1:11
	ds_store_2addr_b64 v22, v[47:48], v[57:58] offset0:22 offset1:33
	ds_store_2addr_b64 v22, v[39:40], v[76:77] offset0:44 offset1:55
	;; [unrolled: 1-line block ×4, first 2 shown]
	ds_store_b64 v22, v[27:28] offset:880
	global_wb scope:SCOPE_SE
	s_wait_dscnt 0x0
	s_barrier_signal -1
	s_barrier_wait -1
	global_inv scope:SCOPE_SE
	s_and_saveexec_b32 s0, vcc_lo
	s_cbranch_execz .LBB0_13
; %bb.12:
	v_mul_u32_u24_e32 v20, 10, v54
	v_add_nc_u32_e32 v117, 0x79, v68
	v_add_nc_u32_e32 v118, 0xf2, v68
	;; [unrolled: 1-line block ×4, first 2 shown]
	v_lshlrev_b32_e32 v28, 4, v20
	v_mad_co_u64_u32 v[91:92], null, s8, v117, 0
	v_mad_co_u64_u32 v[93:94], null, s8, v118, 0
	s_clause 0x9
	global_load_b128 v[56:59], v28, s[4:5] offset:1760
	global_load_b128 v[36:39], v28, s[4:5] offset:1776
	;; [unrolled: 1-line block ×10, first 2 shown]
	ds_load_2addr_b64 v[60:63], v60 offset0:121 offset1:242
	ds_load_2addr_b64 v[73:76], v73 offset0:93 offset1:214
	;; [unrolled: 1-line block ×4, first 2 shown]
	v_add_nc_u32_e32 v127, 0x1e4, v68
	v_add_nc_u32_e32 v130, 0x34f, v68
	;; [unrolled: 1-line block ×3, first 2 shown]
	v_mad_co_u64_u32 v[95:96], null, s8, v126, 0
	v_add_nc_u32_e32 v129, 0x2d6, v68
	v_mad_co_u64_u32 v[99:100], null, s8, v128, 0
	v_add_nc_u32_e32 v133, 0x4ba, v68
	v_add_co_u32 v64, vcc_lo, s10, v64
	s_wait_alu 0xfffd
	v_add_co_ci_u32_e32 v65, vcc_lo, s11, v65, vcc_lo
	s_wait_loadcnt 0x9
	v_mul_f64_e32 v[89:90], v[16:17], v[58:59]
	s_wait_dscnt 0x3
	v_mul_f64_e32 v[71:72], v[60:61], v[58:59]
	s_wait_loadcnt 0x8
	v_mul_f64_e32 v[103:104], v[18:19], v[38:39]
	v_mul_f64_e32 v[38:39], v[62:63], v[38:39]
	ds_load_2addr_b64 v[85:88], v70 offset0:65 offset1:186
	ds_load_b64 v[58:59], v69
	s_wait_loadcnt 0x6
	v_mul_f64_e32 v[107:108], v[2:3], v[22:23]
	s_wait_loadcnt 0x4
	v_mul_f64_e32 v[111:112], v[14:15], v[50:51]
	s_wait_dscnt 0x2
	v_mul_f64_e32 v[22:23], v[83:84], v[22:23]
	v_mul_f64_e32 v[109:110], v[12:13], v[54:55]
	v_mad_co_u64_u32 v[69:70], null, s8, v68, 0
	s_wait_loadcnt 0x1
	v_mul_f64_e32 v[122:123], v[6:7], v[34:35]
	v_mul_f64_e32 v[34:35], v[79:80], v[34:35]
	;; [unrolled: 1-line block ×4, first 2 shown]
	s_wait_loadcnt 0x0
	v_mul_f64_e32 v[124:125], v[0:1], v[30:31]
	v_mul_f64_e32 v[30:31], v[81:82], v[30:31]
	s_wait_dscnt 0x1
	v_mul_f64_e32 v[50:51], v[87:88], v[50:51]
	v_mul_f64_e32 v[54:55], v[85:86], v[54:55]
	v_fma_f64 v[60:61], v[60:61], v[56:57], v[89:90]
	v_fma_f64 v[16:17], v[16:17], v[56:57], -v[71:72]
	v_mul_f64_e32 v[71:72], v[4:5], v[26:27]
	v_mul_f64_e32 v[26:27], v[77:78], v[26:27]
	v_fma_f64 v[62:63], v[62:63], v[36:37], v[103:104]
	v_fma_f64 v[18:19], v[18:19], v[36:37], -v[38:39]
	v_mad_co_u64_u32 v[89:90], null, s8, v130, 0
	v_fma_f64 v[2:3], v[2:3], v[20:21], -v[22:23]
	v_mad_co_u64_u32 v[56:57], null, s8, v132, 0
	v_fma_f64 v[6:7], v[6:7], v[32:33], -v[34:35]
	v_fma_f64 v[22:23], v[75:76], v[40:41], v[120:121]
	v_fma_f64 v[10:11], v[10:11], v[40:41], -v[42:43]
	v_fma_f64 v[40:41], v[81:82], v[28:29], v[124:125]
	v_fma_f64 v[0:1], v[0:1], v[28:29], -v[30:31]
	v_fma_f64 v[12:13], v[12:13], v[52:53], -v[54:55]
	s_wait_dscnt 0x0
	v_add_f64_e32 v[103:104], v[58:59], v[60:61]
	v_add_f64_e32 v[36:37], v[66:67], v[16:17]
	v_mad_co_u64_u32 v[115:116], null, s9, v68, v[70:71]
	v_mov_b32_e32 v70, v94
	v_mad_co_u64_u32 v[97:98], null, s8, v127, 0
	v_dual_mov_b32 v68, v92 :: v_dual_add_nc_u32 v131, 0x3c8, v68
	v_fma_f64 v[38:39], v[77:78], v[24:25], v[71:72]
	v_fma_f64 v[4:5], v[4:5], v[24:25], -v[26:27]
	v_fma_f64 v[77:78], v[85:86], v[52:53], v[109:110]
	v_mov_b32_e32 v92, v96
	v_mov_b32_e32 v94, v98
	v_mad_co_u64_u32 v[116:117], null, s9, v117, v[68:69]
	v_mad_co_u64_u32 v[117:118], null, s9, v118, v[70:71]
	v_fma_f64 v[71:72], v[83:84], v[20:21], v[107:108]
	v_fma_f64 v[83:84], v[87:88], v[48:49], v[111:112]
	v_mul_f64_e32 v[118:119], v[8:9], v[46:47]
	v_mul_f64_e32 v[46:47], v[73:74], v[46:47]
	v_mad_co_u64_u32 v[101:102], null, s8, v129, 0
	v_mad_co_u64_u32 v[105:106], null, s8, v131, 0
	v_mov_b32_e32 v96, v100
	v_mad_co_u64_u32 v[85:86], null, s9, v126, v[92:93]
	v_mad_co_u64_u32 v[86:87], null, s9, v127, v[94:95]
	s_delay_alu instid0(VALU_DEP_3)
	v_mad_co_u64_u32 v[87:88], null, s9, v128, v[96:97]
	v_mov_b32_e32 v98, v102
	v_mov_b32_e32 v100, v106
	v_fma_f64 v[20:21], v[14:15], v[48:49], -v[50:51]
	v_fma_f64 v[26:27], v[79:80], v[32:33], v[122:123]
	v_mad_co_u64_u32 v[113:114], null, s8, v133, 0
	v_add_f64_e32 v[24:25], v[62:63], v[103:104]
	v_add_f64_e32 v[36:37], v[18:19], v[36:37]
	v_mad_co_u64_u32 v[106:107], null, s9, v129, v[98:99]
	v_mad_co_u64_u32 v[107:108], null, s9, v130, v[90:91]
	;; [unrolled: 1-line block ×3, first 2 shown]
	v_mov_b32_e32 v100, v87
	v_add_f64_e64 v[79:80], v[4:5], -v[2:3]
	v_add_f64_e32 v[87:88], v[4:5], v[2:3]
	v_add_f64_e64 v[42:43], v[62:63], -v[77:78]
	v_mov_b32_e32 v102, v114
	v_mad_co_u64_u32 v[109:110], null, s9, v132, v[57:58]
	v_mov_b32_e32 v92, v116
	v_mov_b32_e32 v94, v117
	v_add_f64_e64 v[34:35], v[38:39], -v[71:72]
	v_add_f64_e32 v[32:33], v[60:61], v[83:84]
	v_fma_f64 v[14:15], v[73:74], v[44:45], v[118:119]
	v_fma_f64 v[8:9], v[8:9], v[44:45], -v[46:47]
	v_add_f64_e64 v[44:45], v[60:61], -v[83:84]
	v_mad_co_u64_u32 v[110:111], null, s9, v133, v[102:103]
	v_mov_b32_e32 v102, v106
	v_mov_b32_e32 v106, v108
	;; [unrolled: 1-line block ×4, first 2 shown]
	v_add_f64_e32 v[30:31], v[62:63], v[77:78]
	v_mov_b32_e32 v90, v107
	v_lshlrev_b64_e32 v[73:74], 4, v[105:106]
	v_dual_mov_b32 v57, v109 :: v_dual_mov_b32 v114, v110
	v_lshlrev_b64_e32 v[46:47], 4, v[91:92]
	v_add_f64_e64 v[85:86], v[16:17], -v[20:21]
	v_add_f64_e32 v[16:17], v[16:17], v[20:21]
	v_add_f64_e32 v[91:92], v[26:27], v[40:41]
	v_add_f64_e64 v[81:82], v[18:19], -v[12:13]
	v_add_f64_e32 v[24:25], v[38:39], v[24:25]
	v_add_f64_e32 v[4:5], v[4:5], v[36:37]
	v_add_f64_e64 v[36:37], v[26:27], -v[40:41]
	v_add_f64_e32 v[18:19], v[18:19], v[12:13]
	v_mov_b32_e32 v70, v115
	v_add_f64_e32 v[28:29], v[38:39], v[71:72]
	v_lshlrev_b64_e32 v[48:49], 4, v[93:94]
	v_lshlrev_b64_e32 v[54:55], 4, v[99:100]
	;; [unrolled: 1-line block ×5, first 2 shown]
	v_mul_f64_e32 v[109:110], s[6:7], v[42:43]
	v_mul_f64_e32 v[121:122], s[28:29], v[42:43]
	;; [unrolled: 1-line block ×4, first 2 shown]
	v_lshlrev_b64_e32 v[50:51], 4, v[95:96]
	v_lshlrev_b64_e32 v[52:53], 4, v[97:98]
	v_mul_f64_e32 v[107:108], s[26:27], v[34:35]
	v_mul_f64_e32 v[105:106], s[34:35], v[32:33]
	;; [unrolled: 1-line block ×13, first 2 shown]
	v_add_f64_e32 v[38:39], v[14:15], v[22:23]
	v_add_f64_e64 v[93:94], v[14:15], -v[22:23]
	v_mul_f64_e32 v[103:104], s[2:3], v[30:31]
	v_mul_f64_e32 v[115:116], s[22:23], v[30:31]
	;; [unrolled: 1-line block ×5, first 2 shown]
	v_add_f64_e64 v[89:90], v[8:9], -v[10:11]
	v_add_f64_e32 v[24:25], v[26:27], v[24:25]
	v_add_f64_e32 v[4:5], v[6:7], v[4:5]
	v_mul_f64_e32 v[26:27], s[30:31], v[34:35]
	v_mul_f64_e32 v[34:35], s[18:19], v[42:43]
	;; [unrolled: 1-line block ×3, first 2 shown]
	v_add_f64_e32 v[99:100], v[8:9], v[10:11]
	v_mul_f64_e32 v[101:102], s[20:21], v[28:29]
	v_mul_f64_e32 v[113:114], s[2:3], v[28:29]
	;; [unrolled: 1-line block ×5, first 2 shown]
	v_fma_f64 v[183:184], v[18:19], s[2:3], v[109:110]
	v_fma_f64 v[109:110], v[18:19], s[2:3], -v[109:110]
	v_add_f64_e64 v[95:96], v[6:7], -v[0:1]
	v_fma_f64 v[209:210], v[18:19], s[20:21], v[145:146]
	v_fma_f64 v[145:146], v[18:19], s[20:21], -v[145:146]
	v_add_f64_e32 v[97:98], v[6:7], v[0:1]
	v_mul_f64_e32 v[149:150], s[14:15], v[91:92]
	v_fma_f64 v[179:180], v[85:86], s[36:37], v[105:106]
	v_fma_f64 v[105:106], v[85:86], s[38:39], v[105:106]
	;; [unrolled: 1-line block ×10, first 2 shown]
	v_fma_f64 v[111:112], v[16:17], s[34:35], -v[111:112]
	v_fma_f64 v[207:208], v[16:17], s[14:15], -v[147:148]
	;; [unrolled: 1-line block ×3, first 2 shown]
	v_fma_f64 v[129:130], v[85:86], s[28:29], v[129:130]
	v_fma_f64 v[141:142], v[85:86], s[16:17], v[141:142]
	;; [unrolled: 1-line block ×7, first 2 shown]
	v_add_f64_e32 v[14:15], v[14:15], v[24:25]
	v_add_f64_e32 v[4:5], v[8:9], v[4:5]
	v_fma_f64 v[24:25], v[18:19], s[22:23], v[121:122]
	v_fma_f64 v[8:9], v[87:88], s[2:3], -v[119:120]
	v_fma_f64 v[205:206], v[16:17], s[2:3], -v[42:43]
	;; [unrolled: 1-line block ×4, first 2 shown]
	v_fma_f64 v[16:17], v[16:17], s[2:3], v[42:43]
	v_fma_f64 v[177:178], v[81:82], s[12:13], v[103:104]
	;; [unrolled: 1-line block ×8, first 2 shown]
	v_fma_f64 v[42:43], v[18:19], s[34:35], -v[133:134]
	v_fma_f64 v[133:134], v[81:82], s[24:25], v[139:140]
	v_fma_f64 v[139:140], v[81:82], s[26:27], v[139:140]
	;; [unrolled: 1-line block ×3, first 2 shown]
	v_fma_f64 v[18:19], v[18:19], s[14:15], -v[34:35]
	v_add_f64_e32 v[105:106], v[58:59], v[105:106]
	v_add_f64_e32 v[191:192], v[58:59], v[191:192]
	;; [unrolled: 1-line block ×17, first 2 shown]
	v_mul_f64_e32 v[151:152], s[34:35], v[91:92]
	v_add_f64_e32 v[14:15], v[22:23], v[14:15]
	v_add_f64_e32 v[4:5], v[10:11], v[4:5]
	v_mul_f64_e32 v[159:160], s[2:3], v[91:92]
	v_mul_f64_e32 v[163:164], s[22:23], v[91:92]
	v_add_f64_e32 v[205:206], v[66:67], v[205:206]
	v_mul_f64_e32 v[91:92], s[20:21], v[91:92]
	v_add_f64_e32 v[121:122], v[66:67], v[121:122]
	v_add_f64_e32 v[16:17], v[66:67], v[16:17]
	v_fma_f64 v[85:86], v[87:88], s[34:35], v[143:144]
	v_fma_f64 v[66:67], v[87:88], s[34:35], -v[143:144]
	v_fma_f64 v[143:144], v[79:80], s[28:29], v[28:29]
	v_fma_f64 v[28:29], v[79:80], s[30:31], v[28:29]
	v_mul_f64_e32 v[6:7], s[16:17], v[36:37]
	v_mul_f64_e32 v[153:154], s[38:39], v[36:37]
	;; [unrolled: 1-line block ×5, first 2 shown]
	v_fma_f64 v[175:176], v[79:80], s[24:25], v[101:102]
	v_fma_f64 v[101:102], v[79:80], s[26:27], v[101:102]
	v_fma_f64 v[187:188], v[79:80], s[6:7], v[113:114]
	v_fma_f64 v[113:114], v[79:80], s[12:13], v[113:114]
	v_fma_f64 v[185:186], v[79:80], s[18:19], v[125:126]
	v_add_f64_e32 v[30:31], v[30:31], v[201:202]
	v_fma_f64 v[125:126], v[79:80], s[16:17], v[125:126]
	v_fma_f64 v[10:11], v[79:80], s[38:39], v[137:138]
	;; [unrolled: 1-line block ×4, first 2 shown]
	v_fma_f64 v[26:27], v[87:88], s[22:23], -v[26:27]
	v_add_f64_e32 v[24:25], v[24:25], v[195:196]
	v_fma_f64 v[181:182], v[87:88], s[20:21], v[107:108]
	v_fma_f64 v[107:108], v[87:88], s[20:21], -v[107:108]
	v_add_f64_e32 v[34:35], v[183:184], v[34:35]
	v_add_f64_e32 v[103:104], v[103:104], v[105:106]
	;; [unrolled: 1-line block ×5, first 2 shown]
	v_fma_f64 v[22:23], v[87:88], s[14:15], v[131:132]
	v_fma_f64 v[131:132], v[87:88], s[14:15], -v[131:132]
	v_add_f64_e32 v[14:15], v[40:41], v[14:15]
	v_add_f64_e32 v[0:1], v[0:1], v[4:5]
	;; [unrolled: 1-line block ×15, first 2 shown]
	v_mul_f64_e32 v[44:45], s[22:23], v[38:39]
	v_mul_f64_e32 v[157:158], s[14:15], v[38:39]
	;; [unrolled: 1-line block ×5, first 2 shown]
	v_fma_f64 v[129:130], v[95:96], s[6:7], v[159:160]
	v_fma_f64 v[135:136], v[95:96], s[12:13], v[159:160]
	;; [unrolled: 1-line block ×4, first 2 shown]
	v_add_f64_e32 v[28:29], v[28:29], v[30:31]
	v_mul_f64_e32 v[155:156], s[30:31], v[93:94]
	v_mul_f64_e32 v[167:168], s[16:17], v[93:94]
	;; [unrolled: 1-line block ×5, first 2 shown]
	v_fma_f64 v[183:184], v[95:96], s[18:19], v[149:150]
	v_fma_f64 v[149:150], v[95:96], s[16:17], v[149:150]
	;; [unrolled: 1-line block ×8, first 2 shown]
	v_add_f64_e32 v[14:15], v[71:72], v[14:15]
	v_add_f64_e32 v[0:1], v[2:3], v[0:1]
	v_fma_f64 v[36:37], v[97:98], s[20:21], -v[36:37]
	v_add_f64_e32 v[24:25], v[193:194], v[24:25]
	v_add_f64_e32 v[2:3], v[26:27], v[4:5]
	v_fma_f64 v[105:106], v[97:98], s[14:15], v[6:7]
	v_fma_f64 v[6:7], v[97:98], s[14:15], -v[6:7]
	v_fma_f64 v[81:82], v[97:98], s[34:35], -v[153:154]
	;; [unrolled: 1-line block ×3, first 2 shown]
	v_add_f64_e32 v[34:35], v[181:182], v[34:35]
	v_add_f64_e32 v[101:102], v[101:102], v[103:104]
	;; [unrolled: 1-line block ×7, first 2 shown]
	v_fma_f64 v[139:140], v[97:98], s[2:3], -v[161:162]
	v_add_f64_e32 v[113:114], v[125:126], v[119:120]
	v_add_f64_e32 v[18:19], v[131:132], v[40:41]
	;; [unrolled: 1-line block ×3, first 2 shown]
	v_fma_f64 v[133:134], v[97:98], s[2:3], v[161:162]
	v_add_f64_e32 v[161:162], v[175:176], v[177:178]
	v_add_f64_e32 v[26:27], v[185:186], v[42:43]
	;; [unrolled: 1-line block ×3, first 2 shown]
	v_fma_f64 v[145:146], v[97:98], s[22:23], v[165:166]
	v_add_f64_e32 v[10:11], v[10:11], v[123:124]
	v_add_f64_e32 v[30:31], v[85:86], v[127:128]
	;; [unrolled: 1-line block ×4, first 2 shown]
	v_fma_f64 v[125:126], v[89:90], s[36:37], v[38:39]
	v_fma_f64 v[38:39], v[89:90], s[38:39], v[38:39]
	v_add_f64_e32 v[28:29], v[91:92], v[28:29]
	v_lshlrev_b64_e32 v[68:69], 4, v[69:70]
	v_fma_f64 v[179:180], v[89:90], s[28:29], v[44:45]
	v_fma_f64 v[44:45], v[89:90], s[30:31], v[44:45]
	;; [unrolled: 1-line block ×5, first 2 shown]
	v_add_f64_e32 v[77:78], v[77:78], v[14:15]
	v_add_f64_e32 v[91:92], v[12:13], v[0:1]
	v_fma_f64 v[70:71], v[89:90], s[24:25], v[169:170]
	v_fma_f64 v[85:86], v[89:90], s[26:27], v[169:170]
	;; [unrolled: 1-line block ×4, first 2 shown]
	v_fma_f64 v[89:90], v[99:100], s[34:35], -v[93:94]
	v_add_f64_e32 v[24:25], v[191:192], v[24:25]
	v_add_f64_e32 v[36:37], v[36:37], v[2:3]
	v_fma_f64 v[97:98], v[99:100], s[22:23], v[155:156]
	v_fma_f64 v[155:156], v[99:100], s[22:23], -v[155:156]
	v_fma_f64 v[66:67], v[99:100], s[14:15], -v[167:168]
	v_fma_f64 v[79:80], v[99:100], s[20:21], v[171:172]
	v_fma_f64 v[117:118], v[99:100], s[20:21], -v[171:172]
	v_fma_f64 v[121:122], v[99:100], s[2:3], v[87:88]
	;; [unrolled: 2-line block ×3, first 2 shown]
	v_add_f64_e32 v[34:35], v[105:106], v[34:35]
	v_add_f64_e32 v[99:100], v[149:150], v[101:102]
	;; [unrolled: 1-line block ×18, first 2 shown]
	v_add_co_u32 v68, vcc_lo, v64, v68
	s_wait_alu 0xfffd
	v_add_co_ci_u32_e32 v69, vcc_lo, v65, v69, vcc_lo
	v_add_f64_e32 v[30:31], v[83:84], v[77:78]
	v_add_f64_e32 v[28:29], v[20:21], v[91:92]
	v_add_co_u32 v46, vcc_lo, v64, v46
	s_wait_alu 0xfffd
	v_add_co_ci_u32_e32 v47, vcc_lo, v65, v47, vcc_lo
	v_add_f64_e32 v[8:9], v[42:43], v[24:25]
	v_add_f64_e32 v[24:25], v[89:90], v[36:37]
	v_add_co_u32 v48, vcc_lo, v64, v48
	s_wait_alu 0xfffd
	v_add_co_ci_u32_e32 v49, vcc_lo, v65, v49, vcc_lo
	v_add_co_u32 v50, vcc_lo, v64, v50
	s_wait_alu 0xfffd
	v_add_co_ci_u32_e32 v51, vcc_lo, v65, v51, vcc_lo
	v_add_f64_e32 v[0:1], v[97:98], v[34:35]
	v_add_f64_e32 v[6:7], v[44:45], v[99:100]
	;; [unrolled: 1-line block ×17, first 2 shown]
	v_add_co_u32 v44, vcc_lo, v64, v52
	s_wait_alu 0xfffd
	v_add_co_ci_u32_e32 v45, vcc_lo, v65, v53, vcc_lo
	v_add_co_u32 v52, vcc_lo, v64, v54
	s_wait_alu 0xfffd
	v_add_co_ci_u32_e32 v53, vcc_lo, v65, v55, vcc_lo
	;; [unrolled: 3-line block ×3, first 2 shown]
	v_lshlrev_b64_e32 v[56:57], 4, v[56:57]
	v_add_co_u32 v58, vcc_lo, v64, v62
	s_wait_alu 0xfffd
	v_add_co_ci_u32_e32 v59, vcc_lo, v65, v63, vcc_lo
	v_add_co_u32 v60, vcc_lo, v64, v73
	s_wait_alu 0xfffd
	v_add_co_ci_u32_e32 v61, vcc_lo, v65, v74, vcc_lo
	;; [unrolled: 3-line block ×4, first 2 shown]
	s_clause 0xa
	global_store_b128 v[68:69], v[28:31], off
	global_store_b128 v[46:47], v[24:27], off
	;; [unrolled: 1-line block ×11, first 2 shown]
.LBB0_13:
	s_nop 0
	s_sendmsg sendmsg(MSG_DEALLOC_VGPRS)
	s_endpgm
	.section	.rodata,"a",@progbits
	.p2align	6, 0x0
	.amdhsa_kernel fft_rtc_fwd_len1331_factors_11_11_11_wgs_242_tpt_121_halfLds_dp_ip_CI_sbrr_dirReg
		.amdhsa_group_segment_fixed_size 0
		.amdhsa_private_segment_fixed_size 0
		.amdhsa_kernarg_size 88
		.amdhsa_user_sgpr_count 2
		.amdhsa_user_sgpr_dispatch_ptr 0
		.amdhsa_user_sgpr_queue_ptr 0
		.amdhsa_user_sgpr_kernarg_segment_ptr 1
		.amdhsa_user_sgpr_dispatch_id 0
		.amdhsa_user_sgpr_private_segment_size 0
		.amdhsa_wavefront_size32 1
		.amdhsa_uses_dynamic_stack 0
		.amdhsa_enable_private_segment 0
		.amdhsa_system_sgpr_workgroup_id_x 1
		.amdhsa_system_sgpr_workgroup_id_y 0
		.amdhsa_system_sgpr_workgroup_id_z 0
		.amdhsa_system_sgpr_workgroup_info 0
		.amdhsa_system_vgpr_workitem_id 0
		.amdhsa_next_free_vgpr 213
		.amdhsa_next_free_sgpr 40
		.amdhsa_reserve_vcc 1
		.amdhsa_float_round_mode_32 0
		.amdhsa_float_round_mode_16_64 0
		.amdhsa_float_denorm_mode_32 3
		.amdhsa_float_denorm_mode_16_64 3
		.amdhsa_fp16_overflow 0
		.amdhsa_workgroup_processor_mode 1
		.amdhsa_memory_ordered 1
		.amdhsa_forward_progress 0
		.amdhsa_round_robin_scheduling 0
		.amdhsa_exception_fp_ieee_invalid_op 0
		.amdhsa_exception_fp_denorm_src 0
		.amdhsa_exception_fp_ieee_div_zero 0
		.amdhsa_exception_fp_ieee_overflow 0
		.amdhsa_exception_fp_ieee_underflow 0
		.amdhsa_exception_fp_ieee_inexact 0
		.amdhsa_exception_int_div_zero 0
	.end_amdhsa_kernel
	.text
.Lfunc_end0:
	.size	fft_rtc_fwd_len1331_factors_11_11_11_wgs_242_tpt_121_halfLds_dp_ip_CI_sbrr_dirReg, .Lfunc_end0-fft_rtc_fwd_len1331_factors_11_11_11_wgs_242_tpt_121_halfLds_dp_ip_CI_sbrr_dirReg
                                        ; -- End function
	.section	.AMDGPU.csdata,"",@progbits
; Kernel info:
; codeLenInByte = 9560
; NumSgprs: 42
; NumVgprs: 213
; ScratchSize: 0
; MemoryBound: 1
; FloatMode: 240
; IeeeMode: 1
; LDSByteSize: 0 bytes/workgroup (compile time only)
; SGPRBlocks: 5
; VGPRBlocks: 26
; NumSGPRsForWavesPerEU: 42
; NumVGPRsForWavesPerEU: 213
; Occupancy: 7
; WaveLimiterHint : 1
; COMPUTE_PGM_RSRC2:SCRATCH_EN: 0
; COMPUTE_PGM_RSRC2:USER_SGPR: 2
; COMPUTE_PGM_RSRC2:TRAP_HANDLER: 0
; COMPUTE_PGM_RSRC2:TGID_X_EN: 1
; COMPUTE_PGM_RSRC2:TGID_Y_EN: 0
; COMPUTE_PGM_RSRC2:TGID_Z_EN: 0
; COMPUTE_PGM_RSRC2:TIDIG_COMP_CNT: 0
	.text
	.p2alignl 7, 3214868480
	.fill 96, 4, 3214868480
	.type	__hip_cuid_284a7cc13fbf87a6,@object ; @__hip_cuid_284a7cc13fbf87a6
	.section	.bss,"aw",@nobits
	.globl	__hip_cuid_284a7cc13fbf87a6
__hip_cuid_284a7cc13fbf87a6:
	.byte	0                               ; 0x0
	.size	__hip_cuid_284a7cc13fbf87a6, 1

	.ident	"AMD clang version 19.0.0git (https://github.com/RadeonOpenCompute/llvm-project roc-6.4.0 25133 c7fe45cf4b819c5991fe208aaa96edf142730f1d)"
	.section	".note.GNU-stack","",@progbits
	.addrsig
	.addrsig_sym __hip_cuid_284a7cc13fbf87a6
	.amdgpu_metadata
---
amdhsa.kernels:
  - .args:
      - .actual_access:  read_only
        .address_space:  global
        .offset:         0
        .size:           8
        .value_kind:     global_buffer
      - .offset:         8
        .size:           8
        .value_kind:     by_value
      - .actual_access:  read_only
        .address_space:  global
        .offset:         16
        .size:           8
        .value_kind:     global_buffer
      - .actual_access:  read_only
        .address_space:  global
        .offset:         24
        .size:           8
        .value_kind:     global_buffer
      - .offset:         32
        .size:           8
        .value_kind:     by_value
      - .actual_access:  read_only
        .address_space:  global
        .offset:         40
        .size:           8
        .value_kind:     global_buffer
      - .actual_access:  read_only
        .address_space:  global
        .offset:         48
        .size:           8
        .value_kind:     global_buffer
      - .offset:         56
        .size:           4
        .value_kind:     by_value
      - .actual_access:  read_only
        .address_space:  global
        .offset:         64
        .size:           8
        .value_kind:     global_buffer
      - .actual_access:  read_only
        .address_space:  global
        .offset:         72
        .size:           8
        .value_kind:     global_buffer
      - .address_space:  global
        .offset:         80
        .size:           8
        .value_kind:     global_buffer
    .group_segment_fixed_size: 0
    .kernarg_segment_align: 8
    .kernarg_segment_size: 88
    .language:       OpenCL C
    .language_version:
      - 2
      - 0
    .max_flat_workgroup_size: 242
    .name:           fft_rtc_fwd_len1331_factors_11_11_11_wgs_242_tpt_121_halfLds_dp_ip_CI_sbrr_dirReg
    .private_segment_fixed_size: 0
    .sgpr_count:     42
    .sgpr_spill_count: 0
    .symbol:         fft_rtc_fwd_len1331_factors_11_11_11_wgs_242_tpt_121_halfLds_dp_ip_CI_sbrr_dirReg.kd
    .uniform_work_group_size: 1
    .uses_dynamic_stack: false
    .vgpr_count:     213
    .vgpr_spill_count: 0
    .wavefront_size: 32
    .workgroup_processor_mode: 1
amdhsa.target:   amdgcn-amd-amdhsa--gfx1201
amdhsa.version:
  - 1
  - 2
...

	.end_amdgpu_metadata
